;; amdgpu-corpus repo=ROCm/rocFFT kind=compiled arch=gfx906 opt=O3
	.text
	.amdgcn_target "amdgcn-amd-amdhsa--gfx906"
	.amdhsa_code_object_version 6
	.protected	fft_rtc_fwd_len143_factors_13_11_wgs_182_tpt_13_dp_ip_CI_sbrr_dirReg ; -- Begin function fft_rtc_fwd_len143_factors_13_11_wgs_182_tpt_13_dp_ip_CI_sbrr_dirReg
	.globl	fft_rtc_fwd_len143_factors_13_11_wgs_182_tpt_13_dp_ip_CI_sbrr_dirReg
	.p2align	8
	.type	fft_rtc_fwd_len143_factors_13_11_wgs_182_tpt_13_dp_ip_CI_sbrr_dirReg,@function
fft_rtc_fwd_len143_factors_13_11_wgs_182_tpt_13_dp_ip_CI_sbrr_dirReg: ; @fft_rtc_fwd_len143_factors_13_11_wgs_182_tpt_13_dp_ip_CI_sbrr_dirReg
; %bb.0:
	s_load_dwordx2 s[14:15], s[4:5], 0x18
	s_load_dwordx4 s[8:11], s[4:5], 0x0
	s_load_dwordx2 s[12:13], s[4:5], 0x50
	v_mul_u32_u24_e32 v1, 0x13b2, v0
	v_lshrrev_b32_e32 v1, 16, v1
	v_mad_u64_u32 v[54:55], s[0:1], s6, 14, v[1:2]
	s_waitcnt lgkmcnt(0)
	s_load_dwordx2 s[2:3], s[14:15], 0x0
	v_mov_b32_e32 v3, 0
	v_cmp_lt_u64_e64 s[0:1], s[10:11], 2
	v_mov_b32_e32 v55, v3
	v_mov_b32_e32 v1, 0
	;; [unrolled: 1-line block ×3, first 2 shown]
	s_and_b64 vcc, exec, s[0:1]
	v_mov_b32_e32 v2, 0
	v_mov_b32_e32 v8, v55
	s_cbranch_vccnz .LBB0_8
; %bb.1:
	s_load_dwordx2 s[0:1], s[4:5], 0x10
	s_add_u32 s6, s14, 8
	s_addc_u32 s7, s15, 0
	v_mov_b32_e32 v1, 0
	v_mov_b32_e32 v5, v54
	s_waitcnt lgkmcnt(0)
	s_add_u32 s18, s0, 8
	s_mov_b64 s[16:17], 1
	v_mov_b32_e32 v2, 0
	s_addc_u32 s19, s1, 0
	v_mov_b32_e32 v6, v55
.LBB0_2:                                ; =>This Inner Loop Header: Depth=1
	s_load_dwordx2 s[20:21], s[18:19], 0x0
                                        ; implicit-def: $vgpr7_vgpr8
	s_waitcnt lgkmcnt(0)
	v_or_b32_e32 v4, s21, v6
	v_cmp_ne_u64_e32 vcc, 0, v[3:4]
	s_and_saveexec_b64 s[0:1], vcc
	s_xor_b64 s[22:23], exec, s[0:1]
	s_cbranch_execz .LBB0_4
; %bb.3:                                ;   in Loop: Header=BB0_2 Depth=1
	v_cvt_f32_u32_e32 v4, s20
	v_cvt_f32_u32_e32 v7, s21
	s_sub_u32 s0, 0, s20
	s_subb_u32 s1, 0, s21
	v_mac_f32_e32 v4, 0x4f800000, v7
	v_rcp_f32_e32 v4, v4
	v_mul_f32_e32 v4, 0x5f7ffffc, v4
	v_mul_f32_e32 v7, 0x2f800000, v4
	v_trunc_f32_e32 v7, v7
	v_mac_f32_e32 v4, 0xcf800000, v7
	v_cvt_u32_f32_e32 v7, v7
	v_cvt_u32_f32_e32 v4, v4
	v_mul_lo_u32 v8, s0, v7
	v_mul_hi_u32 v9, s0, v4
	v_mul_lo_u32 v11, s1, v4
	v_mul_lo_u32 v10, s0, v4
	v_add_u32_e32 v8, v9, v8
	v_add_u32_e32 v8, v8, v11
	v_mul_hi_u32 v9, v4, v10
	v_mul_lo_u32 v11, v4, v8
	v_mul_hi_u32 v13, v4, v8
	v_mul_hi_u32 v12, v7, v10
	v_mul_lo_u32 v10, v7, v10
	v_mul_hi_u32 v14, v7, v8
	v_add_co_u32_e32 v9, vcc, v9, v11
	v_addc_co_u32_e32 v11, vcc, 0, v13, vcc
	v_mul_lo_u32 v8, v7, v8
	v_add_co_u32_e32 v9, vcc, v9, v10
	v_addc_co_u32_e32 v9, vcc, v11, v12, vcc
	v_addc_co_u32_e32 v10, vcc, 0, v14, vcc
	v_add_co_u32_e32 v8, vcc, v9, v8
	v_addc_co_u32_e32 v9, vcc, 0, v10, vcc
	v_add_co_u32_e32 v4, vcc, v4, v8
	v_addc_co_u32_e32 v7, vcc, v7, v9, vcc
	v_mul_lo_u32 v8, s0, v7
	v_mul_hi_u32 v9, s0, v4
	v_mul_lo_u32 v10, s1, v4
	v_mul_lo_u32 v11, s0, v4
	v_add_u32_e32 v8, v9, v8
	v_add_u32_e32 v8, v8, v10
	v_mul_lo_u32 v12, v4, v8
	v_mul_hi_u32 v13, v4, v11
	v_mul_hi_u32 v14, v4, v8
	;; [unrolled: 1-line block ×3, first 2 shown]
	v_mul_lo_u32 v11, v7, v11
	v_mul_hi_u32 v9, v7, v8
	v_add_co_u32_e32 v12, vcc, v13, v12
	v_addc_co_u32_e32 v13, vcc, 0, v14, vcc
	v_mul_lo_u32 v8, v7, v8
	v_add_co_u32_e32 v11, vcc, v12, v11
	v_addc_co_u32_e32 v10, vcc, v13, v10, vcc
	v_addc_co_u32_e32 v9, vcc, 0, v9, vcc
	v_add_co_u32_e32 v8, vcc, v10, v8
	v_addc_co_u32_e32 v9, vcc, 0, v9, vcc
	v_add_co_u32_e32 v4, vcc, v4, v8
	v_addc_co_u32_e32 v9, vcc, v7, v9, vcc
	v_mad_u64_u32 v[7:8], s[0:1], v5, v9, 0
	v_mul_hi_u32 v10, v5, v4
	v_add_co_u32_e32 v11, vcc, v10, v7
	v_addc_co_u32_e32 v12, vcc, 0, v8, vcc
	v_mad_u64_u32 v[7:8], s[0:1], v6, v4, 0
	v_mad_u64_u32 v[9:10], s[0:1], v6, v9, 0
	v_add_co_u32_e32 v4, vcc, v11, v7
	v_addc_co_u32_e32 v4, vcc, v12, v8, vcc
	v_addc_co_u32_e32 v7, vcc, 0, v10, vcc
	v_add_co_u32_e32 v4, vcc, v4, v9
	v_addc_co_u32_e32 v9, vcc, 0, v7, vcc
	v_mul_lo_u32 v10, s21, v4
	v_mul_lo_u32 v11, s20, v9
	v_mad_u64_u32 v[7:8], s[0:1], s20, v4, 0
	v_add3_u32 v8, v8, v11, v10
	v_sub_u32_e32 v10, v6, v8
	v_mov_b32_e32 v11, s21
	v_sub_co_u32_e32 v7, vcc, v5, v7
	v_subb_co_u32_e64 v10, s[0:1], v10, v11, vcc
	v_subrev_co_u32_e64 v11, s[0:1], s20, v7
	v_subbrev_co_u32_e64 v10, s[0:1], 0, v10, s[0:1]
	v_cmp_le_u32_e64 s[0:1], s21, v10
	v_cndmask_b32_e64 v12, 0, -1, s[0:1]
	v_cmp_le_u32_e64 s[0:1], s20, v11
	v_cndmask_b32_e64 v11, 0, -1, s[0:1]
	v_cmp_eq_u32_e64 s[0:1], s21, v10
	v_cndmask_b32_e64 v10, v12, v11, s[0:1]
	v_add_co_u32_e64 v11, s[0:1], 2, v4
	v_addc_co_u32_e64 v12, s[0:1], 0, v9, s[0:1]
	v_add_co_u32_e64 v13, s[0:1], 1, v4
	v_addc_co_u32_e64 v14, s[0:1], 0, v9, s[0:1]
	v_subb_co_u32_e32 v8, vcc, v6, v8, vcc
	v_cmp_ne_u32_e64 s[0:1], 0, v10
	v_cmp_le_u32_e32 vcc, s21, v8
	v_cndmask_b32_e64 v10, v14, v12, s[0:1]
	v_cndmask_b32_e64 v12, 0, -1, vcc
	v_cmp_le_u32_e32 vcc, s20, v7
	v_cndmask_b32_e64 v7, 0, -1, vcc
	v_cmp_eq_u32_e32 vcc, s21, v8
	v_cndmask_b32_e32 v7, v12, v7, vcc
	v_cmp_ne_u32_e32 vcc, 0, v7
	v_cndmask_b32_e64 v7, v13, v11, s[0:1]
	v_cndmask_b32_e32 v8, v9, v10, vcc
	v_cndmask_b32_e32 v7, v4, v7, vcc
.LBB0_4:                                ;   in Loop: Header=BB0_2 Depth=1
	s_andn2_saveexec_b64 s[0:1], s[22:23]
	s_cbranch_execz .LBB0_6
; %bb.5:                                ;   in Loop: Header=BB0_2 Depth=1
	v_cvt_f32_u32_e32 v4, s20
	s_sub_i32 s22, 0, s20
	v_rcp_iflag_f32_e32 v4, v4
	v_mul_f32_e32 v4, 0x4f7ffffe, v4
	v_cvt_u32_f32_e32 v4, v4
	v_mul_lo_u32 v7, s22, v4
	v_mul_hi_u32 v7, v4, v7
	v_add_u32_e32 v4, v4, v7
	v_mul_hi_u32 v4, v5, v4
	v_mul_lo_u32 v7, v4, s20
	v_add_u32_e32 v8, 1, v4
	v_sub_u32_e32 v7, v5, v7
	v_subrev_u32_e32 v9, s20, v7
	v_cmp_le_u32_e32 vcc, s20, v7
	v_cndmask_b32_e32 v7, v7, v9, vcc
	v_cndmask_b32_e32 v4, v4, v8, vcc
	v_add_u32_e32 v8, 1, v4
	v_cmp_le_u32_e32 vcc, s20, v7
	v_cndmask_b32_e32 v7, v4, v8, vcc
	v_mov_b32_e32 v8, v3
.LBB0_6:                                ;   in Loop: Header=BB0_2 Depth=1
	s_or_b64 exec, exec, s[0:1]
	v_mul_lo_u32 v4, v8, s20
	v_mul_lo_u32 v11, v7, s21
	v_mad_u64_u32 v[9:10], s[0:1], v7, s20, 0
	s_load_dwordx2 s[0:1], s[6:7], 0x0
	s_add_u32 s16, s16, 1
	v_add3_u32 v4, v10, v11, v4
	v_sub_co_u32_e32 v5, vcc, v5, v9
	v_subb_co_u32_e32 v4, vcc, v6, v4, vcc
	s_waitcnt lgkmcnt(0)
	v_mul_lo_u32 v4, s0, v4
	v_mul_lo_u32 v6, s1, v5
	v_mad_u64_u32 v[1:2], s[0:1], s0, v5, v[1:2]
	s_addc_u32 s17, s17, 0
	s_add_u32 s6, s6, 8
	v_add3_u32 v2, v6, v2, v4
	v_mov_b32_e32 v4, s10
	v_mov_b32_e32 v5, s11
	s_addc_u32 s7, s7, 0
	v_cmp_ge_u64_e32 vcc, s[16:17], v[4:5]
	s_add_u32 s18, s18, 8
	s_addc_u32 s19, s19, 0
	s_cbranch_vccnz .LBB0_8
; %bb.7:                                ;   in Loop: Header=BB0_2 Depth=1
	v_mov_b32_e32 v5, v7
	v_mov_b32_e32 v6, v8
	s_branch .LBB0_2
.LBB0_8:
	s_lshl_b64 s[0:1], s[10:11], 3
	s_add_u32 s0, s14, s0
	s_addc_u32 s1, s15, s1
	s_load_dwordx2 s[6:7], s[0:1], 0x0
	s_load_dwordx2 s[10:11], s[4:5], 0x20
	v_mov_b32_e32 v102, 0
                                        ; implicit-def: $vgpr18_vgpr19
                                        ; implicit-def: $vgpr22_vgpr23
                                        ; implicit-def: $vgpr26_vgpr27
                                        ; implicit-def: $vgpr14_vgpr15
                                        ; implicit-def: $vgpr30_vgpr31
                                        ; implicit-def: $vgpr34_vgpr35
                                        ; implicit-def: $vgpr10_vgpr11
                                        ; implicit-def: $vgpr46_vgpr47
                                        ; implicit-def: $vgpr50_vgpr51
                                        ; implicit-def: $vgpr42_vgpr43
                                        ; implicit-def: $vgpr38_vgpr39
	s_waitcnt lgkmcnt(0)
	v_mad_u64_u32 v[52:53], s[0:1], s6, v7, v[1:2]
	s_mov_b32 s0, 0x13b13b14
	v_mul_hi_u32 v1, v0, s0
	v_mul_lo_u32 v3, s6, v8
	v_mul_lo_u32 v4, s7, v7
	v_cmp_gt_u64_e32 vcc, s[10:11], v[7:8]
	v_mul_u32_u24_e32 v1, 13, v1
	v_sub_u32_e32 v84, v0, v1
	v_add3_u32 v53, v4, v53, v3
                                        ; implicit-def: $vgpr6_vgpr7
                                        ; implicit-def: $vgpr2_vgpr3
	s_and_saveexec_b64 s[4:5], vcc
	s_cbranch_execz .LBB0_12
; %bb.9:
	v_cmp_gt_u32_e64 s[0:1], 11, v84
                                        ; implicit-def: $vgpr0_vgpr1
                                        ; implicit-def: $vgpr36_vgpr37
                                        ; implicit-def: $vgpr40_vgpr41
                                        ; implicit-def: $vgpr48_vgpr49
                                        ; implicit-def: $vgpr44_vgpr45
                                        ; implicit-def: $vgpr8_vgpr9
                                        ; implicit-def: $vgpr32_vgpr33
                                        ; implicit-def: $vgpr28_vgpr29
                                        ; implicit-def: $vgpr12_vgpr13
                                        ; implicit-def: $vgpr24_vgpr25
                                        ; implicit-def: $vgpr20_vgpr21
                                        ; implicit-def: $vgpr16_vgpr17
                                        ; implicit-def: $vgpr4_vgpr5
	s_and_saveexec_b64 s[6:7], s[0:1]
	s_cbranch_execz .LBB0_11
; %bb.10:
	v_mad_u64_u32 v[0:1], s[0:1], s2, v84, 0
	v_add_u32_e32 v7, 11, v84
	v_mad_u64_u32 v[4:5], s[0:1], s2, v7, 0
	v_mad_u64_u32 v[1:2], s[0:1], s3, v84, v[1:2]
	v_lshlrev_b64 v[2:3], 4, v[52:53]
	v_mov_b32_e32 v6, s13
	v_add_co_u32_e64 v8, s[0:1], s12, v2
	v_mov_b32_e32 v2, v5
	v_addc_co_u32_e64 v9, s[0:1], v6, v3, s[0:1]
	v_mad_u64_u32 v[2:3], s[0:1], s3, v7, v[2:3]
	v_add_u32_e32 v3, 22, v84
	v_mad_u64_u32 v[6:7], s[0:1], s2, v3, 0
	v_lshlrev_b64 v[0:1], 4, v[0:1]
	v_mov_b32_e32 v5, v2
	v_add_co_u32_e64 v55, s[0:1], v8, v0
	v_mov_b32_e32 v2, v7
	v_addc_co_u32_e64 v56, s[0:1], v9, v1, s[0:1]
	v_lshlrev_b64 v[0:1], 4, v[4:5]
	v_mad_u64_u32 v[2:3], s[0:1], s3, v3, v[2:3]
	v_add_u32_e32 v5, 33, v84
	v_mad_u64_u32 v[3:4], s[0:1], s2, v5, 0
	v_add_co_u32_e64 v57, s[0:1], v8, v0
	v_mov_b32_e32 v7, v2
	v_mov_b32_e32 v2, v4
	v_addc_co_u32_e64 v58, s[0:1], v9, v1, s[0:1]
	v_lshlrev_b64 v[0:1], 4, v[6:7]
	v_mad_u64_u32 v[4:5], s[0:1], s3, v5, v[2:3]
	v_add_u32_e32 v7, 44, v84
	v_mad_u64_u32 v[5:6], s[0:1], s2, v7, 0
	v_add_co_u32_e64 v59, s[0:1], v8, v0
	v_mov_b32_e32 v2, v6
	v_addc_co_u32_e64 v60, s[0:1], v9, v1, s[0:1]
	v_lshlrev_b64 v[0:1], 4, v[3:4]
	v_mad_u64_u32 v[2:3], s[0:1], s3, v7, v[2:3]
	v_add_u32_e32 v7, 55, v84
	v_mad_u64_u32 v[3:4], s[0:1], s2, v7, 0
	v_add_co_u32_e64 v61, s[0:1], v8, v0
	v_mov_b32_e32 v6, v2
	v_mov_b32_e32 v2, v4
	v_addc_co_u32_e64 v62, s[0:1], v9, v1, s[0:1]
	v_lshlrev_b64 v[0:1], 4, v[5:6]
	v_mad_u64_u32 v[4:5], s[0:1], s3, v7, v[2:3]
	v_add_u32_e32 v7, 0x42, v84
	v_mad_u64_u32 v[5:6], s[0:1], s2, v7, 0
	;; [unrolled: 15-line block ×5, first 2 shown]
	v_add_co_u32_e64 v75, s[0:1], v8, v0
	v_mov_b32_e32 v2, v6
	v_addc_co_u32_e64 v76, s[0:1], v9, v1, s[0:1]
	v_lshlrev_b64 v[0:1], 4, v[3:4]
	v_mad_u64_u32 v[2:3], s[0:1], s3, v7, v[2:3]
	v_add_co_u32_e64 v77, s[0:1], v8, v0
	v_mov_b32_e32 v6, v2
	v_addc_co_u32_e64 v78, s[0:1], v9, v1, s[0:1]
	v_lshlrev_b64 v[0:1], 4, v[5:6]
	v_add_co_u32_e64 v79, s[0:1], v8, v0
	v_addc_co_u32_e64 v80, s[0:1], v9, v1, s[0:1]
	global_load_dwordx4 v[0:3], v[55:56], off
	global_load_dwordx4 v[36:39], v[57:58], off
	;; [unrolled: 1-line block ×13, first 2 shown]
.LBB0_11:
	s_or_b64 exec, exec, s[6:7]
	v_mov_b32_e32 v102, v84
.LBB0_12:
	s_or_b64 exec, exec, s[4:5]
	v_lshrrev_b32_e32 v55, 1, v54
	s_mov_b32 s0, 0x92492493
	v_mul_hi_u32 v55, v55, s0
	v_cmp_gt_u32_e64 s[0:1], 11, v84
	v_lshrrev_b32_e32 v55, 2, v55
	v_mul_lo_u32 v55, v55, 14
	v_sub_u32_e32 v54, v54, v55
	v_mul_u32_u24_e32 v85, 0x8f, v54
	s_and_saveexec_b64 s[4:5], s[0:1]
	s_cbranch_execz .LBB0_14
; %bb.13:
	s_waitcnt vmcnt(11)
	v_add_f64 v[62:63], v[38:39], v[2:3]
	v_add_f64 v[64:65], v[36:37], v[0:1]
	s_waitcnt vmcnt(4)
	v_add_f64 v[66:67], v[10:11], -v[14:15]
	s_mov_b32 s6, 0x4bc48dbf
	s_mov_b32 s7, 0xbfcea1e5
	v_add_f64 v[58:59], v[32:33], -v[28:29]
	v_add_f64 v[56:57], v[28:29], v[32:33]
	s_waitcnt vmcnt(3)
	v_add_f64 v[76:77], v[44:45], -v[24:25]
	v_add_f64 v[72:73], v[42:43], v[62:63]
	v_add_f64 v[74:75], v[40:41], v[64:65]
	v_add_f64 v[62:63], v[14:15], v[10:11]
	v_add_f64 v[64:65], v[26:27], v[46:47]
	v_add_f64 v[68:69], v[24:25], v[44:45]
	s_waitcnt vmcnt(2)
	v_add_f64 v[78:79], v[50:51], -v[22:23]
	s_mov_b32 s0, 0x93053d00
	s_mov_b32 s25, 0x3fddbe06
	v_add_f64 v[82:83], v[50:51], v[72:73]
	v_add_f64 v[86:87], v[48:49], v[74:75]
	v_add_f64 v[74:75], v[46:47], -v[26:27]
	v_add_f64 v[72:73], v[22:23], v[50:51]
	s_waitcnt vmcnt(1)
	v_add_f64 v[50:51], v[18:19], v[42:43]
	s_mov_b32 s24, 0x4267c47c
	s_mov_b32 s1, 0xbfef11f4
	v_add_f64 v[54:55], v[30:31], v[34:35]
	v_add_f64 v[88:89], v[46:47], v[82:83]
	v_add_f64 v[86:87], v[44:45], v[86:87]
	s_waitcnt vmcnt(0)
	v_add_f64 v[82:83], v[36:37], -v[4:5]
	v_add_f64 v[46:47], v[40:41], -v[16:17]
	;; [unrolled: 1-line block ×3, first 2 shown]
	v_add_f64 v[42:43], v[6:7], v[38:39]
	v_add_f64 v[38:39], v[38:39], -v[6:7]
	v_add_f64 v[60:61], v[34:35], -v[30:31]
	v_add_f64 v[10:11], v[10:11], v[88:89]
	v_add_f64 v[86:87], v[8:9], v[86:87]
	v_mul_f64 v[88:89], v[82:83], s[6:7]
	v_add_f64 v[80:81], v[48:49], -v[20:21]
	v_add_f64 v[36:37], v[4:5], v[36:37]
	s_mov_b32 s16, 0xe00740e9
	s_mov_b32 s14, 0x24c2f84
	;; [unrolled: 1-line block ×3, first 2 shown]
	v_add_f64 v[10:11], v[34:35], v[10:11]
	v_add_f64 v[32:33], v[32:33], v[86:87]
	v_mul_f64 v[34:35], v[46:47], s[24:25]
	v_mul_f64 v[86:87], v[38:39], s[6:7]
	v_fma_f64 v[90:91], v[42:43], s[0:1], -v[88:89]
	s_mov_b32 s15, 0xbfe5384d
	v_add_f64 v[40:41], v[16:17], v[40:41]
	s_mov_b32 s10, 0xd0032e0c
	v_add_f64 v[10:11], v[30:31], v[10:11]
	v_add_f64 v[28:29], v[28:29], v[32:33]
	v_mul_f64 v[30:31], v[44:45], s[24:25]
	v_mul_f64 v[32:33], v[80:81], s[14:15]
	v_fma_f64 v[92:93], v[50:51], s[16:17], -v[34:35]
	v_fma_f64 v[94:95], v[36:37], s[0:1], v[86:87]
	s_mov_b32 s38, 0x42a4c3d2
	s_mov_b32 s11, 0xbfe7f3cc
	v_add_f64 v[10:11], v[14:15], v[10:11]
	v_add_f64 v[14:15], v[12:13], v[28:29]
	;; [unrolled: 1-line block ×3, first 2 shown]
	s_mov_b32 s39, 0x3fea55e2
	v_add_f64 v[70:71], v[8:9], -v[12:13]
	v_add_f64 v[48:49], v[20:21], v[48:49]
	v_fma_f64 v[90:91], v[40:41], s[16:17], v[30:31]
	v_fma_f64 v[96:97], v[72:73], s[10:11], -v[32:33]
	v_add_f64 v[10:11], v[26:27], v[10:11]
	v_add_f64 v[94:95], v[0:1], v[94:95]
	;; [unrolled: 1-line block ×4, first 2 shown]
	v_mul_f64 v[26:27], v[76:77], s[38:39]
	v_mul_f64 v[28:29], v[78:79], s[14:15]
	s_mov_b32 s20, 0x1ea71119
	s_mov_b32 s22, 0x2ef20147
	v_add_f64 v[10:11], v[22:23], v[10:11]
	s_mov_b32 s21, 0x3fe22d96
	s_mov_b32 s23, 0xbfedeba7
	v_add_f64 v[90:91], v[90:91], v[94:95]
	v_add_f64 v[14:15], v[20:21], v[14:15]
	;; [unrolled: 1-line block ×3, first 2 shown]
	v_fma_f64 v[22:23], v[64:65], s[20:21], -v[26:27]
	v_mul_f64 v[24:25], v[70:71], s[22:23]
	v_fma_f64 v[92:93], v[48:49], s[10:11], v[28:29]
	v_mul_f64 v[94:95], v[74:75], s[38:39]
	v_add_f64 v[10:11], v[18:19], v[10:11]
	s_mov_b32 s18, 0xb2365da1
	s_mov_b32 s19, 0xbfd6b1d8
	v_add_f64 v[14:15], v[16:17], v[14:15]
	v_add_f64 v[18:19], v[22:23], v[20:21]
	v_fma_f64 v[20:21], v[62:63], s[18:19], -v[24:25]
	v_add_f64 v[22:23], v[92:93], v[90:91]
	v_fma_f64 v[90:91], v[68:69], s[20:21], v[94:95]
	v_add_f64 v[16:17], v[12:13], v[8:9]
	v_fma_f64 v[8:9], v[42:43], s[0:1], v[88:89]
	v_add_f64 v[6:7], v[6:7], v[10:11]
	v_fma_f64 v[10:11], v[36:37], s[0:1], -v[86:87]
	v_mul_f64 v[12:13], v[66:67], s[22:23]
	v_add_f64 v[4:5], v[4:5], v[14:15]
	v_add_f64 v[14:15], v[20:21], v[18:19]
	;; [unrolled: 1-line block ×3, first 2 shown]
	v_fma_f64 v[20:21], v[50:51], s[16:17], v[34:35]
	v_add_f64 v[8:9], v[2:3], v[8:9]
	v_fma_f64 v[22:23], v[40:41], s[16:17], -v[30:31]
	v_add_f64 v[10:11], v[0:1], v[10:11]
	s_mov_b32 s30, 0x66966769
	s_mov_b32 s31, 0x3fefc445
	v_fma_f64 v[30:31], v[16:17], s[18:19], v[12:13]
	v_mul_f64 v[34:35], v[58:59], s[30:31]
	v_mul_f64 v[86:87], v[60:61], s[30:31]
	v_add_f64 v[8:9], v[20:21], v[8:9]
	v_fma_f64 v[20:21], v[72:73], s[10:11], v[32:33]
	v_add_f64 v[10:11], v[22:23], v[10:11]
	v_fma_f64 v[22:23], v[48:49], s[10:11], -v[28:29]
	s_mov_b32 s26, 0xebaa3ed8
	s_mov_b32 s27, 0x3fbedb7d
	v_fma_f64 v[28:29], v[54:55], s[26:27], -v[34:35]
	v_mul_f64 v[32:33], v[82:83], s[14:15]
	v_add_f64 v[18:19], v[30:31], v[18:19]
	v_fma_f64 v[30:31], v[56:57], s[26:27], v[86:87]
	v_add_f64 v[20:21], v[20:21], v[8:9]
	v_fma_f64 v[26:27], v[64:65], s[20:21], v[26:27]
	v_add_f64 v[22:23], v[22:23], v[10:11]
	v_fma_f64 v[88:89], v[68:69], s[20:21], -v[94:95]
	v_mul_f64 v[90:91], v[38:39], s[14:15]
	v_add_f64 v[10:11], v[28:29], v[14:15]
	v_fma_f64 v[14:15], v[42:43], s[10:11], -v[32:33]
	v_mul_f64 v[28:29], v[46:47], s[30:31]
	v_add_f64 v[8:9], v[30:31], v[18:19]
	v_add_f64 v[18:19], v[26:27], v[20:21]
	v_fma_f64 v[20:21], v[62:63], s[18:19], v[24:25]
	v_add_f64 v[22:23], v[88:89], v[22:23]
	v_fma_f64 v[12:13], v[16:17], s[18:19], -v[12:13]
	v_fma_f64 v[26:27], v[36:37], s[10:11], v[90:91]
	v_mul_f64 v[30:31], v[44:45], s[30:31]
	s_mov_b32 s29, 0xbfea55e2
	s_mov_b32 s28, s38
	v_add_f64 v[14:15], v[2:3], v[14:15]
	v_fma_f64 v[24:25], v[50:51], s[26:27], -v[28:29]
	v_mul_f64 v[88:89], v[80:81], s[28:29]
	v_add_f64 v[18:19], v[20:21], v[18:19]
	v_add_f64 v[12:13], v[12:13], v[22:23]
	v_fma_f64 v[20:21], v[54:55], s[26:27], v[34:35]
	v_add_f64 v[22:23], v[0:1], v[26:27]
	v_fma_f64 v[26:27], v[40:41], s[26:27], v[30:31]
	v_mul_f64 v[34:35], v[78:79], s[28:29]
	s_mov_b32 s41, 0x3fcea1e5
	s_mov_b32 s40, s6
	v_add_f64 v[24:25], v[24:25], v[14:15]
	v_fma_f64 v[92:93], v[72:73], s[20:21], -v[88:89]
	v_mul_f64 v[96:97], v[74:75], s[40:41]
	v_mul_f64 v[94:95], v[76:77], s[40:41]
	v_add_f64 v[22:23], v[26:27], v[22:23]
	v_fma_f64 v[26:27], v[48:49], s[20:21], v[34:35]
	v_add_f64 v[14:15], v[20:21], v[18:19]
	v_fma_f64 v[20:21], v[42:43], s[10:11], v[32:33]
	v_fma_f64 v[32:33], v[36:37], s[10:11], -v[90:91]
	v_add_f64 v[18:19], v[92:93], v[24:25]
	v_mul_f64 v[92:93], v[66:67], s[24:25]
	v_fma_f64 v[24:25], v[64:65], s[0:1], -v[94:95]
	v_mul_f64 v[90:91], v[70:71], s[24:25]
	v_add_f64 v[22:23], v[26:27], v[22:23]
	v_fma_f64 v[26:27], v[68:69], s[0:1], v[96:97]
	v_fma_f64 v[28:29], v[50:51], s[26:27], v[28:29]
	v_add_f64 v[20:21], v[2:3], v[20:21]
	v_fma_f64 v[30:31], v[40:41], s[26:27], -v[30:31]
	v_add_f64 v[32:33], v[0:1], v[32:33]
	v_fma_f64 v[86:87], v[56:57], s[26:27], -v[86:87]
	;; [unrolled: 2-line block ×3, first 2 shown]
	v_add_f64 v[22:23], v[26:27], v[22:23]
	v_fma_f64 v[26:27], v[16:17], s[16:17], v[92:93]
	v_mul_f64 v[98:99], v[58:59], s[22:23]
	v_add_f64 v[20:21], v[28:29], v[20:21]
	v_fma_f64 v[28:29], v[72:73], s[20:21], v[88:89]
	v_add_f64 v[30:31], v[30:31], v[32:33]
	v_fma_f64 v[32:33], v[48:49], s[20:21], -v[34:35]
	s_mov_b32 s37, 0x3fe5384d
	s_mov_b32 s36, s14
	v_add_f64 v[22:23], v[26:27], v[22:23]
	v_mul_f64 v[26:27], v[82:83], s[22:23]
	v_add_f64 v[12:13], v[86:87], v[12:13]
	v_add_f64 v[18:19], v[24:25], v[18:19]
	v_fma_f64 v[24:25], v[54:55], s[18:19], -v[98:99]
	v_add_f64 v[20:21], v[28:29], v[20:21]
	v_fma_f64 v[28:29], v[64:65], s[0:1], v[94:95]
	v_add_f64 v[30:31], v[32:33], v[30:31]
	v_fma_f64 v[32:33], v[68:69], s[0:1], -v[96:97]
	v_fma_f64 v[34:35], v[42:43], s[18:19], -v[26:27]
	v_mul_f64 v[86:87], v[46:47], s[36:37]
	v_mul_f64 v[94:95], v[38:39], s[22:23]
	;; [unrolled: 1-line block ×3, first 2 shown]
	v_fma_f64 v[90:91], v[62:63], s[16:17], v[90:91]
	v_add_f64 v[28:29], v[28:29], v[20:21]
	v_mul_f64 v[96:97], v[80:81], s[24:25]
	v_add_f64 v[30:31], v[32:33], v[30:31]
	v_fma_f64 v[32:33], v[16:17], s[16:17], -v[92:93]
	v_add_f64 v[34:35], v[2:3], v[34:35]
	v_fma_f64 v[92:93], v[50:51], s[10:11], -v[86:87]
	v_add_f64 v[20:21], v[24:25], v[18:19]
	v_fma_f64 v[18:19], v[36:37], s[18:19], v[94:95]
	v_mul_f64 v[100:101], v[44:45], s[36:37]
	v_fma_f64 v[24:25], v[56:57], s[18:19], v[88:89]
	v_add_f64 v[28:29], v[90:91], v[28:29]
	v_add_f64 v[30:31], v[32:33], v[30:31]
	v_mul_f64 v[103:104], v[78:79], s[24:25]
	v_add_f64 v[32:33], v[92:93], v[34:35]
	v_fma_f64 v[34:35], v[72:73], s[16:17], -v[96:97]
	v_add_f64 v[90:91], v[0:1], v[18:19]
	v_fma_f64 v[92:93], v[40:41], s[10:11], v[100:101]
	v_fma_f64 v[98:99], v[54:55], s[18:19], v[98:99]
	s_mov_b32 s35, 0xbfefc445
	s_mov_b32 s34, s30
	v_mul_f64 v[105:106], v[76:77], s[34:35]
	v_fma_f64 v[88:89], v[56:57], s[18:19], -v[88:89]
	v_add_f64 v[18:19], v[24:25], v[22:23]
	v_add_f64 v[32:33], v[34:35], v[32:33]
	;; [unrolled: 1-line block ×3, first 2 shown]
	v_fma_f64 v[90:91], v[48:49], s[16:17], v[103:104]
	v_mul_f64 v[92:93], v[74:75], s[34:35]
	v_add_f64 v[24:25], v[98:99], v[28:29]
	v_fma_f64 v[26:27], v[42:43], s[18:19], v[26:27]
	v_fma_f64 v[28:29], v[36:37], s[18:19], -v[94:95]
	v_fma_f64 v[107:108], v[64:65], s[26:27], -v[105:106]
	v_add_f64 v[22:23], v[88:89], v[30:31]
	v_mul_f64 v[30:31], v[70:71], s[40:41]
	v_add_f64 v[34:35], v[90:91], v[34:35]
	v_fma_f64 v[88:89], v[68:69], s[26:27], v[92:93]
	v_mul_f64 v[90:91], v[66:67], s[40:41]
	v_fma_f64 v[86:87], v[50:51], s[10:11], v[86:87]
	v_add_f64 v[26:27], v[2:3], v[26:27]
	v_fma_f64 v[94:95], v[40:41], s[10:11], -v[100:101]
	v_add_f64 v[28:29], v[0:1], v[28:29]
	v_add_f64 v[32:33], v[107:108], v[32:33]
	v_fma_f64 v[98:99], v[62:63], s[0:1], -v[30:31]
	v_add_f64 v[34:35], v[88:89], v[34:35]
	v_mul_f64 v[88:89], v[58:59], s[38:39]
	v_fma_f64 v[100:101], v[16:17], s[0:1], v[90:91]
	v_mul_f64 v[107:108], v[60:61], s[38:39]
	v_add_f64 v[26:27], v[86:87], v[26:27]
	v_fma_f64 v[86:87], v[72:73], s[16:17], v[96:97]
	v_add_f64 v[28:29], v[94:95], v[28:29]
	v_fma_f64 v[94:95], v[48:49], s[16:17], -v[103:104]
	v_add_f64 v[32:33], v[98:99], v[32:33]
	v_fma_f64 v[96:97], v[54:55], s[20:21], -v[88:89]
	v_mul_f64 v[98:99], v[82:83], s[34:35]
	v_add_f64 v[34:35], v[100:101], v[34:35]
	v_fma_f64 v[100:101], v[56:57], s[20:21], v[107:108]
	v_add_f64 v[86:87], v[86:87], v[26:27]
	v_fma_f64 v[103:104], v[64:65], s[26:27], v[105:106]
	v_add_f64 v[94:95], v[94:95], v[28:29]
	v_fma_f64 v[92:93], v[68:69], s[26:27], -v[92:93]
	v_mul_f64 v[105:106], v[38:39], s[34:35]
	v_add_f64 v[28:29], v[96:97], v[32:33]
	v_fma_f64 v[32:33], v[42:43], s[26:27], -v[98:99]
	v_mul_f64 v[96:97], v[46:47], s[6:7]
	v_add_f64 v[26:27], v[100:101], v[34:35]
	v_add_f64 v[34:35], v[103:104], v[86:87]
	v_fma_f64 v[30:31], v[62:63], s[0:1], v[30:31]
	v_add_f64 v[86:87], v[92:93], v[94:95]
	v_fma_f64 v[90:91], v[16:17], s[0:1], -v[90:91]
	v_fma_f64 v[94:95], v[36:37], s[26:27], v[105:106]
	v_mul_f64 v[100:101], v[44:45], s[6:7]
	s_mov_b32 s39, 0x3fedeba7
	s_mov_b32 s38, s22
	v_add_f64 v[32:33], v[2:3], v[32:33]
	v_fma_f64 v[92:93], v[50:51], s[0:1], -v[96:97]
	v_mul_f64 v[103:104], v[80:81], s[38:39]
	v_add_f64 v[30:31], v[30:31], v[34:35]
	v_add_f64 v[34:35], v[90:91], v[86:87]
	v_fma_f64 v[86:87], v[54:55], s[20:21], v[88:89]
	v_add_f64 v[88:89], v[0:1], v[94:95]
	v_fma_f64 v[90:91], v[40:41], s[0:1], v[100:101]
	v_mul_f64 v[94:95], v[78:79], s[38:39]
	v_add_f64 v[92:93], v[92:93], v[32:33]
	v_fma_f64 v[109:110], v[72:73], s[18:19], -v[103:104]
	v_mul_f64 v[111:112], v[76:77], s[24:25]
	v_fma_f64 v[105:106], v[36:37], s[26:27], -v[105:106]
	v_add_f64 v[32:33], v[86:87], v[30:31]
	v_fma_f64 v[30:31], v[42:43], s[26:27], v[98:99]
	v_add_f64 v[86:87], v[90:91], v[88:89]
	v_fma_f64 v[88:89], v[48:49], s[18:19], v[94:95]
	v_mul_f64 v[90:91], v[74:75], s[24:25]
	v_add_f64 v[92:93], v[109:110], v[92:93]
	v_fma_f64 v[98:99], v[64:65], s[16:17], -v[111:112]
	v_fma_f64 v[96:97], v[50:51], s[0:1], v[96:97]
	v_mul_f64 v[109:110], v[70:71], s[28:29]
	v_add_f64 v[30:31], v[2:3], v[30:31]
	v_mul_f64 v[113:114], v[66:67], s[28:29]
	v_add_f64 v[86:87], v[88:89], v[86:87]
	v_fma_f64 v[88:89], v[68:69], s[16:17], v[90:91]
	v_fma_f64 v[100:101], v[40:41], s[0:1], -v[100:101]
	v_add_f64 v[105:106], v[0:1], v[105:106]
	v_fma_f64 v[107:108], v[56:57], s[20:21], -v[107:108]
	v_add_f64 v[92:93], v[98:99], v[92:93]
	v_add_f64 v[96:97], v[96:97], v[30:31]
	v_fma_f64 v[98:99], v[72:73], s[18:19], v[103:104]
	v_fma_f64 v[103:104], v[62:63], s[20:21], -v[109:110]
	v_add_f64 v[86:87], v[88:89], v[86:87]
	v_fma_f64 v[88:89], v[16:17], s[20:21], v[113:114]
	v_mul_f64 v[115:116], v[58:59], s[14:15]
	v_add_f64 v[100:101], v[100:101], v[105:106]
	v_fma_f64 v[94:95], v[48:49], s[18:19], -v[94:95]
	v_add_f64 v[30:31], v[107:108], v[34:35]
	v_add_f64 v[34:35], v[98:99], v[96:97]
	v_fma_f64 v[96:97], v[64:65], s[16:17], v[111:112]
	v_add_f64 v[92:93], v[103:104], v[92:93]
	v_mul_f64 v[98:99], v[82:83], s[28:29]
	v_add_f64 v[86:87], v[88:89], v[86:87]
	v_fma_f64 v[88:89], v[54:55], s[10:11], -v[115:116]
	v_add_f64 v[94:95], v[94:95], v[100:101]
	v_fma_f64 v[90:91], v[68:69], s[16:17], -v[90:91]
	v_mul_f64 v[100:101], v[60:61], s[14:15]
	v_add_f64 v[34:35], v[96:97], v[34:35]
	v_fma_f64 v[96:97], v[62:63], s[20:21], v[109:110]
	v_fma_f64 v[103:104], v[42:43], s[20:21], -v[98:99]
	v_mul_f64 v[105:106], v[46:47], s[22:23]
	v_add_f64 v[88:89], v[88:89], v[92:93]
	v_fma_f64 v[92:93], v[16:17], s[20:21], -v[113:114]
	v_add_f64 v[90:91], v[90:91], v[94:95]
	v_mul_f64 v[107:108], v[38:39], s[28:29]
	v_fma_f64 v[94:95], v[56:57], s[10:11], v[100:101]
	v_add_f64 v[34:35], v[96:97], v[34:35]
	v_add_f64 v[96:97], v[2:3], v[103:104]
	v_fma_f64 v[103:104], v[50:51], s[18:19], -v[105:106]
	v_mul_f64 v[109:110], v[80:81], s[6:7]
	v_mul_f64 v[113:114], v[44:45], s[22:23]
	v_add_f64 v[90:91], v[92:93], v[90:91]
	v_fma_f64 v[92:93], v[54:55], s[10:11], v[115:116]
	v_fma_f64 v[111:112], v[36:37], s[20:21], v[107:108]
	v_add_f64 v[86:87], v[94:95], v[86:87]
	v_fma_f64 v[100:101], v[56:57], s[10:11], -v[100:101]
	v_add_f64 v[94:95], v[103:104], v[96:97]
	v_fma_f64 v[96:97], v[72:73], s[0:1], -v[109:110]
	v_mul_f64 v[115:116], v[78:79], s[6:7]
	v_fma_f64 v[105:106], v[50:51], s[18:19], v[105:106]
	v_add_f64 v[92:93], v[92:93], v[34:35]
	v_fma_f64 v[34:35], v[42:43], s[20:21], v[98:99]
	v_add_f64 v[103:104], v[0:1], v[111:112]
	;; [unrolled: 2-line block ×3, first 2 shown]
	v_add_f64 v[94:95], v[96:97], v[94:95]
	v_fma_f64 v[96:97], v[36:37], s[20:21], -v[107:108]
	v_mul_f64 v[98:99], v[76:77], s[36:37]
	v_mul_f64 v[107:108], v[74:75], s[36:37]
	v_add_f64 v[34:35], v[2:3], v[34:35]
	v_fma_f64 v[113:114], v[40:41], s[18:19], -v[113:114]
	v_add_f64 v[100:101], v[111:112], v[103:104]
	v_fma_f64 v[103:104], v[48:49], s[0:1], v[115:116]
	v_mul_f64 v[117:118], v[70:71], s[30:31]
	v_add_f64 v[96:97], v[0:1], v[96:97]
	v_fma_f64 v[111:112], v[64:65], s[10:11], -v[98:99]
	v_mul_f64 v[119:120], v[66:67], s[30:31]
	v_add_f64 v[34:35], v[105:106], v[34:35]
	v_fma_f64 v[105:106], v[72:73], s[0:1], v[109:110]
	v_fma_f64 v[109:110], v[48:49], s[0:1], -v[115:116]
	v_add_f64 v[100:101], v[103:104], v[100:101]
	v_fma_f64 v[103:104], v[68:69], s[10:11], v[107:108]
	v_add_f64 v[96:97], v[113:114], v[96:97]
	v_fma_f64 v[98:99], v[64:65], s[10:11], v[98:99]
	v_mul_f64 v[113:114], v[58:59], s[24:25]
	v_fma_f64 v[107:108], v[68:69], s[10:11], -v[107:108]
	v_add_f64 v[34:35], v[105:106], v[34:35]
	v_mul_f64 v[105:106], v[60:61], s[24:25]
	s_mov_b32 s25, 0xbfddbe06
	v_add_f64 v[100:101], v[103:104], v[100:101]
	v_fma_f64 v[103:104], v[16:17], s[26:27], v[119:120]
	v_add_f64 v[96:97], v[109:110], v[96:97]
	v_mul_f64 v[82:83], v[82:83], s[24:25]
	v_mul_f64 v[38:39], v[38:39], s[24:25]
	v_add_f64 v[34:35], v[98:99], v[34:35]
	v_fma_f64 v[98:99], v[62:63], s[26:27], v[117:118]
	v_mul_f64 v[46:47], v[46:47], s[28:29]
	v_mul_f64 v[44:45], v[44:45], s[28:29]
	v_add_f64 v[100:101], v[103:104], v[100:101]
	v_add_f64 v[96:97], v[107:108], v[96:97]
	v_fma_f64 v[103:104], v[16:17], s[26:27], -v[119:120]
	v_fma_f64 v[107:108], v[42:43], s[16:17], v[82:83]
	v_fma_f64 v[42:43], v[42:43], s[16:17], -v[82:83]
	v_add_f64 v[34:35], v[98:99], v[34:35]
	v_fma_f64 v[98:99], v[36:37], s[16:17], -v[38:39]
	v_fma_f64 v[36:37], v[36:37], s[16:17], v[38:39]
	v_mul_f64 v[80:81], v[80:81], s[34:35]
	v_mul_f64 v[78:79], v[78:79], s[34:35]
	v_add_f64 v[96:97], v[103:104], v[96:97]
	v_add_f64 v[103:104], v[2:3], v[107:108]
	v_fma_f64 v[107:108], v[50:51], s[20:21], v[46:47]
	v_add_f64 v[2:3], v[2:3], v[42:43]
	v_add_f64 v[82:83], v[0:1], v[98:99]
	v_fma_f64 v[98:99], v[40:41], s[20:21], -v[44:45]
	v_add_f64 v[0:1], v[0:1], v[36:37]
	v_fma_f64 v[36:37], v[50:51], s[20:21], -v[46:47]
	v_fma_f64 v[40:41], v[40:41], s[20:21], v[44:45]
	v_mul_f64 v[42:43], v[76:77], s[22:23]
	v_add_f64 v[38:39], v[107:108], v[103:104]
	v_fma_f64 v[103:104], v[72:73], s[26:27], v[80:81]
	v_mul_f64 v[44:45], v[74:75], s[22:23]
	v_add_f64 v[76:77], v[98:99], v[82:83]
	v_fma_f64 v[82:83], v[48:49], s[26:27], -v[78:79]
	v_fma_f64 v[72:73], v[72:73], s[26:27], -v[80:81]
	v_add_f64 v[2:3], v[36:37], v[2:3]
	v_fma_f64 v[36:37], v[48:49], s[26:27], v[78:79]
	v_add_f64 v[0:1], v[40:41], v[0:1]
	v_add_f64 v[38:39], v[103:104], v[38:39]
	v_fma_f64 v[46:47], v[64:65], s[18:19], v[42:43]
	v_mul_f64 v[50:51], v[70:71], s[14:15]
	v_add_f64 v[70:71], v[82:83], v[76:77]
	v_fma_f64 v[40:41], v[68:69], s[18:19], -v[44:45]
	v_mul_f64 v[48:49], v[66:67], s[14:15]
	v_fma_f64 v[42:43], v[64:65], s[18:19], -v[42:43]
	v_add_f64 v[2:3], v[72:73], v[2:3]
	v_fma_f64 v[44:45], v[68:69], s[18:19], v[44:45]
	v_add_f64 v[0:1], v[36:37], v[0:1]
	v_add_f64 v[38:39], v[46:47], v[38:39]
	v_fma_f64 v[46:47], v[62:63], s[10:11], v[50:51]
	v_add_f64 v[36:37], v[40:41], v[70:71]
	v_fma_f64 v[40:41], v[16:17], s[10:11], -v[48:49]
	v_mul_f64 v[58:59], v[58:59], s[6:7]
	v_mul_f64 v[60:61], v[60:61], s[6:7]
	v_add_f64 v[94:95], v[111:112], v[94:95]
	v_fma_f64 v[111:112], v[62:63], s[26:27], -v[117:118]
	v_fma_f64 v[50:51], v[62:63], s[10:11], -v[50:51]
	v_add_f64 v[2:3], v[42:43], v[2:3]
	v_fma_f64 v[16:17], v[16:17], s[10:11], v[48:49]
	v_add_f64 v[0:1], v[44:45], v[0:1]
	v_add_f64 v[38:39], v[46:47], v[38:39]
	;; [unrolled: 1-line block ×3, first 2 shown]
	v_fma_f64 v[40:41], v[54:55], s[0:1], v[58:59]
	v_fma_f64 v[44:45], v[56:57], s[0:1], -v[60:61]
	v_add_f64 v[94:95], v[111:112], v[94:95]
	v_fma_f64 v[109:110], v[54:55], s[16:17], -v[113:114]
	v_fma_f64 v[111:112], v[56:57], s[16:17], v[105:106]
	v_fma_f64 v[113:114], v[54:55], s[16:17], v[113:114]
	v_fma_f64 v[105:106], v[56:57], s[16:17], -v[105:106]
	v_add_f64 v[48:49], v[50:51], v[2:3]
	v_fma_f64 v[50:51], v[56:57], s[0:1], v[60:61]
	v_add_f64 v[16:17], v[16:17], v[0:1]
	v_fma_f64 v[46:47], v[54:55], s[0:1], -v[58:59]
	v_add_f64 v[40:41], v[40:41], v[38:39]
	v_add_f64 v[38:39], v[44:45], v[42:43]
	;; [unrolled: 1-line block ×7, first 2 shown]
	v_mul_u32_u24_e32 v16, 0xd0, v84
	v_lshlrev_b32_e32 v17, 4, v85
	v_add3_u32 v16, 0, v16, v17
	v_add_f64 v[44:45], v[46:47], v[48:49]
	ds_write_b128 v16, v[4:7]
	ds_write_b128 v16, v[38:41] offset:16
	ds_write_b128 v16, v[34:37] offset:32
	;; [unrolled: 1-line block ×12, first 2 shown]
.LBB0_14:
	s_or_b64 exec, exec, s[4:5]
	s_waitcnt vmcnt(0) lgkmcnt(0)
	s_barrier
	s_and_saveexec_b64 s[0:1], vcc
	s_cbranch_execz .LBB0_16
; %bb.15:
	v_mul_u32_u24_e32 v0, 10, v84
	v_lshlrev_b32_e32 v4, 4, v0
	global_load_dwordx4 v[0:3], v4, s[8:9] offset:64
	global_load_dwordx4 v[8:11], v4, s[8:9] offset:80
	;; [unrolled: 1-line block ×8, first 2 shown]
	global_load_dwordx4 v[62:65], v4, s[8:9]
	global_load_dwordx4 v[66:69], v4, s[8:9] offset:144
	v_lshlrev_b32_e32 v4, 4, v84
	v_lshlrev_b32_e32 v5, 4, v85
	v_add3_u32 v36, 0, v4, v5
	v_add3_u32 v4, 0, v5, v4
	ds_read_b128 v[28:31], v36 offset:1040
	ds_read_b128 v[32:35], v36 offset:1248
	;; [unrolled: 1-line block ×6, first 2 shown]
	ds_read_b128 v[4:7], v4
	ds_read_b128 v[82:85], v36 offset:416
	ds_read_b128 v[88:91], v36 offset:208
	;; [unrolled: 1-line block ×4, first 2 shown]
	s_mov_b32 s16, 0x9bcd5057
	s_mov_b32 s17, 0xbfeeb42a
	;; [unrolled: 1-line block ×30, first 2 shown]
	s_waitcnt vmcnt(9) lgkmcnt(10)
	v_mul_f64 v[36:37], v[0:1], v[30:31]
	s_waitcnt vmcnt(8) lgkmcnt(9)
	v_mul_f64 v[38:39], v[8:9], v[34:35]
	v_mul_f64 v[34:35], v[10:11], v[34:35]
	s_waitcnt vmcnt(6) lgkmcnt(6)
	v_mul_f64 v[78:79], v[16:17], v[72:73]
	s_waitcnt vmcnt(5)
	v_mul_f64 v[103:104], v[22:23], v[56:57]
	v_mul_f64 v[30:31], v[2:3], v[30:31]
	;; [unrolled: 1-line block ×4, first 2 shown]
	s_waitcnt vmcnt(1) lgkmcnt(2)
	v_mul_f64 v[111:112], v[62:63], v[90:91]
	s_waitcnt vmcnt(0) lgkmcnt(0)
	v_mul_f64 v[113:114], v[66:67], v[98:99]
	v_mul_f64 v[86:87], v[20:21], v[56:57]
	;; [unrolled: 1-line block ×9, first 2 shown]
	v_fma_f64 v[44:45], v[2:3], v[28:29], v[36:37]
	v_fma_f64 v[36:37], v[32:33], v[8:9], -v[34:35]
	v_fma_f64 v[34:35], v[18:19], v[70:71], v[78:79]
	v_fma_f64 v[78:79], v[54:55], v[20:21], -v[103:104]
	v_fma_f64 v[90:91], v[64:65], v[88:89], v[111:112]
	v_fma_f64 v[20:21], v[68:69], v[96:97], v[113:114]
	v_mul_f64 v[109:110], v[48:49], v[84:85]
	v_fma_f64 v[42:43], v[28:29], v[0:1], -v[30:31]
	v_fma_f64 v[56:57], v[14:15], v[40:41], v[50:51]
	v_fma_f64 v[50:51], v[40:41], v[12:13], -v[80:81]
	v_fma_f64 v[80:81], v[22:23], v[54:55], v[86:87]
	v_fma_f64 v[30:31], v[26:27], v[74:75], v[100:101]
	v_fma_f64 v[28:29], v[74:75], v[24:25], -v[76:77]
	v_fma_f64 v[84:85], v[48:49], v[82:83], v[105:106]
	v_fma_f64 v[26:27], v[60:61], v[92:93], v[107:108]
	v_fma_f64 v[24:25], v[92:93], v[58:59], -v[94:95]
	v_fma_f64 v[92:93], v[88:89], v[62:63], -v[115:116]
	;; [unrolled: 1-line block ×3, first 2 shown]
	v_add_f64 v[100:101], v[90:91], v[20:21]
	v_fma_f64 v[86:87], v[82:83], v[46:47], -v[109:110]
	v_add_f64 v[82:83], v[90:91], -v[20:21]
	v_mul_f64 v[72:73], v[18:19], v[72:73]
	v_add_f64 v[98:99], v[84:85], v[26:27]
	v_fma_f64 v[38:39], v[10:11], v[32:33], v[38:39]
	v_add_f64 v[96:97], v[80:81], v[30:31]
	v_add_f64 v[64:65], v[92:93], -v[22:23]
	v_mul_f64 v[0:1], v[100:101], s[16:17]
	v_add_f64 v[62:63], v[86:87], -v[24:25]
	v_add_f64 v[76:77], v[84:85], -v[26:27]
	v_add_f64 v[74:75], v[92:93], v[22:23]
	v_mul_f64 v[2:3], v[98:99], s[10:11]
	v_mul_f64 v[10:11], v[82:83], s[22:23]
	v_fma_f64 v[32:33], v[70:71], v[16:17], -v[72:73]
	v_add_f64 v[94:95], v[56:57], v[34:35]
	v_fma_f64 v[8:9], v[64:65], s[24:25], v[0:1]
	v_add_f64 v[58:59], v[78:79], -v[28:29]
	v_add_f64 v[72:73], v[80:81], -v[30:31]
	v_add_f64 v[66:67], v[86:87], v[24:25]
	v_mul_f64 v[12:13], v[96:97], s[0:1]
	v_fma_f64 v[14:15], v[62:63], s[14:15], v[2:3]
	v_mul_f64 v[103:104], v[76:77], s[30:31]
	v_fma_f64 v[105:106], v[74:75], s[16:17], v[10:11]
	v_add_f64 v[8:9], v[6:7], v[8:9]
	v_fma_f64 v[0:1], v[64:65], s[22:23], v[0:1]
	v_fma_f64 v[10:11], v[74:75], s[16:17], -v[10:11]
	v_add_f64 v[88:89], v[44:45], v[38:39]
	v_add_f64 v[48:49], v[50:51], -v[32:33]
	v_add_f64 v[68:69], v[56:57], -v[34:35]
	v_add_f64 v[60:61], v[78:79], v[28:29]
	v_mul_f64 v[18:19], v[94:95], s[6:7]
	v_mul_f64 v[107:108], v[72:73], s[20:21]
	v_fma_f64 v[109:110], v[58:59], s[26:27], v[12:13]
	v_add_f64 v[8:9], v[14:15], v[8:9]
	v_fma_f64 v[111:112], v[66:67], s[10:11], v[103:104]
	v_add_f64 v[105:106], v[4:5], v[105:106]
	;; [unrolled: 2-line block ×3, first 2 shown]
	v_fma_f64 v[103:104], v[66:67], s[10:11], -v[103:104]
	v_add_f64 v[10:11], v[4:5], v[10:11]
	v_add_f64 v[40:41], v[42:43], -v[36:37]
	v_add_f64 v[70:71], v[44:45], -v[38:39]
	v_add_f64 v[54:55], v[50:51], v[32:33]
	v_mul_f64 v[16:17], v[88:89], s[4:5]
	v_fma_f64 v[14:15], v[48:49], s[8:9], v[18:19]
	v_add_f64 v[8:9], v[109:110], v[8:9]
	v_mul_f64 v[109:110], v[68:69], s[34:35]
	v_fma_f64 v[113:114], v[60:61], s[0:1], v[107:108]
	v_add_f64 v[105:106], v[111:112], v[105:106]
	v_fma_f64 v[12:13], v[58:59], s[20:21], v[12:13]
	v_add_f64 v[0:1], v[2:3], v[0:1]
	v_fma_f64 v[2:3], v[60:61], s[0:1], -v[107:108]
	v_add_f64 v[10:11], v[103:104], v[10:11]
	v_add_f64 v[46:47], v[42:43], v[36:37]
	v_mul_f64 v[103:104], v[70:71], s[18:19]
	v_fma_f64 v[107:108], v[54:55], s[6:7], v[109:110]
	v_add_f64 v[105:106], v[113:114], v[105:106]
	v_fma_f64 v[18:19], v[48:49], s[34:35], v[18:19]
	v_add_f64 v[0:1], v[12:13], v[0:1]
	v_fma_f64 v[12:13], v[40:41], s[28:29], v[16:17]
	v_fma_f64 v[109:110], v[54:55], s[6:7], -v[109:110]
	v_add_f64 v[2:3], v[2:3], v[10:11]
	v_add_f64 v[8:9], v[14:15], v[8:9]
	v_fma_f64 v[10:11], v[46:47], s[4:5], v[103:104]
	v_add_f64 v[14:15], v[107:108], v[105:106]
	v_fma_f64 v[16:17], v[40:41], s[18:19], v[16:17]
	v_add_f64 v[18:19], v[18:19], v[0:1]
	v_fma_f64 v[103:104], v[46:47], s[4:5], -v[103:104]
	v_mul_f64 v[105:106], v[100:101], s[0:1]
	v_add_f64 v[107:108], v[109:110], v[2:3]
	v_add_f64 v[2:3], v[12:13], v[8:9]
	v_mul_f64 v[12:13], v[82:83], s[20:21]
	v_add_f64 v[0:1], v[10:11], v[14:15]
	v_mul_f64 v[14:15], v[98:99], s[4:5]
	;; [unrolled: 2-line block ×3, first 2 shown]
	v_fma_f64 v[16:17], v[64:65], s[26:27], v[105:106]
	v_add_f64 v[8:9], v[103:104], v[107:108]
	v_fma_f64 v[105:106], v[64:65], s[20:21], v[105:106]
	v_fma_f64 v[103:104], v[74:75], s[0:1], v[12:13]
	v_mul_f64 v[111:112], v[96:97], s[10:11]
	v_fma_f64 v[113:114], v[62:63], s[18:19], v[14:15]
	v_mul_f64 v[115:116], v[72:73], s[14:15]
	v_fma_f64 v[117:118], v[66:67], s[4:5], v[18:19]
	v_add_f64 v[16:17], v[6:7], v[16:17]
	v_fma_f64 v[14:15], v[62:63], s[28:29], v[14:15]
	v_add_f64 v[105:106], v[6:7], v[105:106]
	v_add_f64 v[103:104], v[4:5], v[103:104]
	v_mul_f64 v[119:120], v[94:95], s[16:17]
	v_fma_f64 v[121:122], v[58:59], s[30:31], v[111:112]
	v_fma_f64 v[12:13], v[74:75], s[0:1], -v[12:13]
	v_fma_f64 v[111:112], v[58:59], s[14:15], v[111:112]
	v_add_f64 v[16:17], v[113:114], v[16:17]
	v_mul_f64 v[113:114], v[68:69], s[22:23]
	v_add_f64 v[14:15], v[14:15], v[105:106]
	v_add_f64 v[103:104], v[117:118], v[103:104]
	v_fma_f64 v[117:118], v[60:61], s[10:11], v[115:116]
	v_mul_f64 v[109:110], v[88:89], s[6:7]
	v_fma_f64 v[105:106], v[48:49], s[24:25], v[119:120]
	v_fma_f64 v[18:19], v[66:67], s[4:5], -v[18:19]
	v_add_f64 v[12:13], v[4:5], v[12:13]
	v_add_f64 v[16:17], v[121:122], v[16:17]
	v_mul_f64 v[121:122], v[100:101], s[4:5]
	v_fma_f64 v[119:120], v[48:49], s[22:23], v[119:120]
	v_add_f64 v[103:104], v[117:118], v[103:104]
	v_fma_f64 v[117:118], v[54:55], s[16:17], v[113:114]
	v_add_f64 v[14:15], v[111:112], v[14:15]
	v_fma_f64 v[107:108], v[40:41], s[8:9], v[109:110]
	v_fma_f64 v[111:112], v[60:61], s[10:11], -v[115:116]
	v_add_f64 v[12:13], v[18:19], v[12:13]
	v_mul_f64 v[18:19], v[98:99], s[16:17]
	v_fma_f64 v[115:116], v[64:65], s[28:29], v[121:122]
	v_add_f64 v[16:17], v[105:106], v[16:17]
	v_mul_f64 v[105:106], v[70:71], s[34:35]
	v_add_f64 v[103:104], v[117:118], v[103:104]
	v_add_f64 v[117:118], v[119:120], v[14:15]
	v_mul_f64 v[119:120], v[82:83], s[18:19]
	v_fma_f64 v[113:114], v[54:55], s[16:17], -v[113:114]
	v_add_f64 v[12:13], v[111:112], v[12:13]
	v_fma_f64 v[111:112], v[62:63], s[22:23], v[18:19]
	v_add_f64 v[115:116], v[6:7], v[115:116]
	v_mul_f64 v[123:124], v[96:97], s[6:7]
	v_fma_f64 v[125:126], v[46:47], s[6:7], v[105:106]
	v_add_f64 v[14:15], v[107:108], v[16:17]
	v_fma_f64 v[16:17], v[40:41], s[34:35], v[109:110]
	v_mul_f64 v[107:108], v[76:77], s[24:25]
	v_fma_f64 v[109:110], v[74:75], s[4:5], v[119:120]
	v_fma_f64 v[121:122], v[64:65], s[18:19], v[121:122]
	v_fma_f64 v[105:106], v[46:47], s[6:7], -v[105:106]
	v_add_f64 v[113:114], v[113:114], v[12:13]
	v_mul_f64 v[127:128], v[94:95], s[10:11]
	v_add_f64 v[111:112], v[111:112], v[115:116]
	v_fma_f64 v[115:116], v[58:59], s[8:9], v[123:124]
	v_add_f64 v[12:13], v[125:126], v[103:104]
	v_fma_f64 v[103:104], v[66:67], s[16:17], v[107:108]
	v_add_f64 v[109:110], v[4:5], v[109:110]
	v_mul_f64 v[125:126], v[72:73], s[34:35]
	v_fma_f64 v[129:130], v[62:63], s[24:25], v[18:19]
	v_add_f64 v[121:122], v[6:7], v[121:122]
	v_add_f64 v[18:19], v[16:17], v[117:118]
	v_fma_f64 v[117:118], v[48:49], s[30:31], v[127:128]
	v_add_f64 v[111:112], v[115:116], v[111:112]
	v_fma_f64 v[115:116], v[74:75], s[4:5], -v[119:120]
	v_add_f64 v[103:104], v[103:104], v[109:110]
	v_fma_f64 v[109:110], v[60:61], s[6:7], v[125:126]
	v_mul_f64 v[119:120], v[68:69], s[14:15]
	v_add_f64 v[121:122], v[129:130], v[121:122]
	v_fma_f64 v[123:124], v[58:59], s[34:35], v[123:124]
	v_add_f64 v[16:17], v[105:106], v[113:114]
	v_mul_f64 v[113:114], v[100:101], s[6:7]
	v_fma_f64 v[105:106], v[66:67], s[16:17], -v[107:108]
	v_add_f64 v[107:108], v[4:5], v[115:116]
	v_add_f64 v[111:112], v[117:118], v[111:112]
	v_add_f64 v[103:104], v[109:110], v[103:104]
	v_fma_f64 v[109:110], v[54:55], s[10:11], v[119:120]
	v_add_f64 v[115:116], v[123:124], v[121:122]
	v_mul_f64 v[117:118], v[88:89], s[0:1]
	v_fma_f64 v[121:122], v[60:61], s[6:7], -v[125:126]
	v_fma_f64 v[123:124], v[48:49], s[14:15], v[127:128]
	v_mul_f64 v[125:126], v[98:99], s[0:1]
	v_fma_f64 v[127:128], v[64:65], s[34:35], v[113:114]
	v_add_f64 v[105:106], v[105:106], v[107:108]
	v_add_f64 v[103:104], v[109:110], v[103:104]
	v_mul_f64 v[131:132], v[96:97], s[16:17]
	v_fma_f64 v[109:110], v[40:41], s[26:27], v[117:118]
	v_mul_f64 v[129:130], v[82:83], s[8:9]
	v_add_f64 v[115:116], v[123:124], v[115:116]
	v_fma_f64 v[133:134], v[62:63], s[26:27], v[125:126]
	v_add_f64 v[127:128], v[6:7], v[127:128]
	v_add_f64 v[121:122], v[121:122], v[105:106]
	v_mul_f64 v[123:124], v[94:95], s[4:5]
	v_mul_f64 v[139:140], v[76:77], s[20:21]
	v_add_f64 v[105:106], v[109:110], v[111:112]
	v_fma_f64 v[109:110], v[40:41], s[20:21], v[117:118]
	v_fma_f64 v[111:112], v[58:59], s[22:23], v[131:132]
	;; [unrolled: 1-line block ×3, first 2 shown]
	v_add_f64 v[117:118], v[133:134], v[127:128]
	v_add_f64 v[90:91], v[6:7], v[90:91]
	;; [unrolled: 1-line block ×3, first 2 shown]
	v_fma_f64 v[133:134], v[66:67], s[0:1], v[139:140]
	v_fma_f64 v[119:120], v[54:55], s[10:11], -v[119:120]
	v_add_f64 v[109:110], v[109:110], v[115:116]
	v_mul_f64 v[100:101], v[100:101], s[10:11]
	v_add_f64 v[127:128], v[4:5], v[137:138]
	v_add_f64 v[111:112], v[111:112], v[117:118]
	v_fma_f64 v[117:118], v[48:49], s[18:19], v[123:124]
	v_add_f64 v[84:85], v[84:85], v[90:91]
	v_add_f64 v[92:93], v[86:87], v[92:93]
	v_mul_f64 v[137:138], v[72:73], s[24:25]
	v_add_f64 v[119:120], v[119:120], v[121:122]
	v_fma_f64 v[113:114], v[64:65], s[8:9], v[113:114]
	v_add_f64 v[115:116], v[133:134], v[127:128]
	v_mul_f64 v[133:134], v[88:89], s[10:11]
	v_add_f64 v[111:112], v[117:118], v[111:112]
	v_fma_f64 v[117:118], v[74:75], s[6:7], -v[129:130]
	v_fma_f64 v[129:130], v[66:67], s[0:1], -v[139:140]
	v_add_f64 v[92:93], v[78:79], v[92:93]
	v_fma_f64 v[121:122], v[60:61], s[16:17], v[137:138]
	v_mul_f64 v[82:83], v[82:83], s[14:15]
	v_mul_f64 v[98:99], v[98:99], s[6:7]
	;; [unrolled: 1-line block ×3, first 2 shown]
	v_fma_f64 v[125:126], v[62:63], s[20:21], v[125:126]
	v_add_f64 v[117:118], v[4:5], v[117:118]
	v_add_f64 v[113:114], v[6:7], v[113:114]
	;; [unrolled: 1-line block ×4, first 2 shown]
	v_fma_f64 v[121:122], v[64:65], s[30:31], v[100:101]
	v_fma_f64 v[64:65], v[64:65], s[14:15], v[100:101]
	v_mul_f64 v[76:77], v[76:77], s[8:9]
	v_mul_f64 v[96:97], v[96:97], s[4:5]
	v_add_f64 v[117:118], v[129:130], v[117:118]
	v_fma_f64 v[129:130], v[40:41], s[14:15], v[133:134]
	v_add_f64 v[42:43], v[42:43], v[50:51]
	v_fma_f64 v[50:51], v[62:63], s[8:9], v[98:99]
	v_add_f64 v[121:122], v[6:7], v[121:122]
	v_add_f64 v[6:7], v[6:7], v[64:65]
	v_fma_f64 v[135:136], v[46:47], s[0:1], v[107:108]
	v_fma_f64 v[107:108], v[46:47], s[0:1], -v[107:108]
	v_add_f64 v[113:114], v[125:126], v[113:114]
	v_add_f64 v[86:87], v[129:130], v[111:112]
	;; [unrolled: 1-line block ×4, first 2 shown]
	v_fma_f64 v[125:126], v[58:59], s[24:25], v[131:132]
	v_fma_f64 v[131:132], v[62:63], s[34:35], v[98:99]
	v_mul_f64 v[72:73], v[72:73], s[18:19]
	v_fma_f64 v[62:63], v[66:67], s[6:7], -v[76:77]
	v_mul_f64 v[94:95], v[94:95], s[0:1]
	v_fma_f64 v[42:43], v[58:59], s[18:19], v[96:97]
	v_add_f64 v[56:57], v[56:57], v[111:112]
	v_fma_f64 v[111:112], v[74:75], s[10:11], v[82:83]
	v_fma_f64 v[74:75], v[74:75], s[10:11], -v[82:83]
	v_add_f64 v[6:7], v[50:51], v[6:7]
	v_add_f64 v[107:108], v[107:108], v[119:120]
	v_mul_f64 v[119:120], v[68:69], s[28:29]
	v_add_f64 v[32:33], v[32:33], v[36:37]
	v_mul_f64 v[68:69], v[68:69], s[20:21]
	v_add_f64 v[44:45], v[44:45], v[56:57]
	v_add_f64 v[82:83], v[4:5], v[111:112]
	;; [unrolled: 1-line block ×3, first 2 shown]
	v_fma_f64 v[50:51], v[60:61], s[4:5], -v[72:73]
	v_mul_f64 v[88:89], v[88:89], s[16:17]
	v_fma_f64 v[36:37], v[48:49], s[20:21], v[94:95]
	v_add_f64 v[6:7], v[42:43], v[6:7]
	v_fma_f64 v[127:128], v[54:55], s[4:5], v[119:120]
	v_add_f64 v[38:39], v[38:39], v[44:45]
	v_add_f64 v[28:29], v[28:29], v[32:33]
	;; [unrolled: 1-line block ×4, first 2 shown]
	v_mul_f64 v[135:136], v[70:71], s[30:31]
	v_mul_f64 v[70:71], v[70:71], s[22:23]
	v_fma_f64 v[42:43], v[54:55], s[0:1], -v[68:69]
	v_fma_f64 v[32:33], v[40:41], s[22:23], v[88:89]
	v_add_f64 v[34:35], v[34:35], v[38:39]
	v_add_f64 v[6:7], v[36:37], v[6:7]
	;; [unrolled: 1-line block ×4, first 2 shown]
	v_fma_f64 v[127:128], v[60:61], s[16:17], -v[137:138]
	v_add_f64 v[28:29], v[24:25], v[28:29]
	v_fma_f64 v[38:39], v[54:55], s[0:1], v[68:69]
	v_fma_f64 v[36:37], v[46:47], s[16:17], -v[70:71]
	v_add_f64 v[30:31], v[30:31], v[34:35]
	v_add_f64 v[6:7], v[32:33], v[6:7]
	;; [unrolled: 1-line block ×4, first 2 shown]
	v_fma_f64 v[123:124], v[48:49], s[28:29], v[123:124]
	v_add_f64 v[117:118], v[127:128], v[117:118]
	v_fma_f64 v[119:120], v[54:55], s[4:5], -v[119:120]
	v_add_f64 v[22:23], v[22:23], v[28:29]
	v_add_f64 v[26:27], v[26:27], v[30:31]
	v_mad_u64_u32 v[30:31], s[0:1], s2, v102, 0
	v_add_u32_e32 v28, 13, v102
	v_add_f64 v[4:5], v[36:37], v[4:5]
	v_mov_b32_e32 v24, v31
	v_mad_u64_u32 v[31:32], s[0:1], s3, v102, v[24:25]
	v_add_f64 v[24:25], v[20:21], v[26:27]
	v_lshlrev_b64 v[20:21], 4, v[52:53]
	v_mov_b32_e32 v26, s13
	v_add_co_u32_e32 v32, vcc, s12, v20
	v_addc_co_u32_e32 v33, vcc, v26, v21, vcc
	v_mad_u64_u32 v[26:27], s[0:1], s2, v28, 0
	v_lshlrev_b64 v[20:21], 4, v[30:31]
	v_add_f64 v[113:114], v[123:124], v[113:114]
	v_mad_u64_u32 v[27:28], s[0:1], s3, v28, v[27:28]
	v_add_f64 v[90:91], v[119:120], v[117:118]
	v_fma_f64 v[117:118], v[40:41], s[30:31], v[133:134]
	v_fma_f64 v[119:120], v[46:47], s[10:11], -v[135:136]
	v_add_co_u32_e32 v20, vcc, v32, v20
	v_addc_co_u32_e32 v21, vcc, v33, v21, vcc
	v_add_u32_e32 v30, 26, v102
	v_mad_u64_u32 v[28:29], s[0:1], s2, v30, 0
	global_store_dwordx4 v[20:21], v[22:25], off
	v_lshlrev_b64 v[20:21], 4, v[26:27]
	v_mov_b32_e32 v22, v29
	v_add_co_u32_e32 v20, vcc, v32, v20
	v_addc_co_u32_e32 v21, vcc, v33, v21, vcc
	global_store_dwordx4 v[20:21], v[4:7], off
	v_add_u32_e32 v20, 39, v102
	v_mad_u64_u32 v[22:23], s[0:1], s3, v30, v[22:23]
	v_mad_u64_u32 v[6:7], s[0:1], s2, v20, 0
	v_add_f64 v[80:81], v[117:118], v[113:114]
	v_add_f64 v[78:79], v[119:120], v[90:91]
	v_mov_b32_e32 v29, v22
	v_mad_u64_u32 v[20:21], s[0:1], s3, v20, v[7:8]
	v_add_u32_e32 v23, 52, v102
	v_lshlrev_b64 v[4:5], 4, v[28:29]
	v_mad_u64_u32 v[21:22], s[0:1], s2, v23, 0
	v_add_co_u32_e32 v4, vcc, v32, v4
	v_addc_co_u32_e32 v5, vcc, v33, v5, vcc
	v_mov_b32_e32 v7, v20
	global_store_dwordx4 v[4:5], v[78:81], off
	v_lshlrev_b64 v[4:5], 4, v[6:7]
	v_mov_b32_e32 v6, v22
	v_mad_u64_u32 v[6:7], s[0:1], s3, v23, v[6:7]
	v_add_u32_e32 v20, 0x41, v102
	v_add_co_u32_e32 v4, vcc, v32, v4
	v_mov_b32_e32 v22, v6
	v_mad_u64_u32 v[6:7], s[0:1], s2, v20, 0
	v_addc_co_u32_e32 v5, vcc, v33, v5, vcc
	global_store_dwordx4 v[4:5], v[107:110], off
	v_lshlrev_b64 v[4:5], 4, v[21:22]
	v_mad_u64_u32 v[20:21], s[0:1], s3, v20, v[7:8]
	v_add_u32_e32 v23, 0x4e, v102
	v_mad_u64_u32 v[21:22], s[0:1], s2, v23, 0
	v_fma_f64 v[56:57], v[66:67], s[6:7], v[76:77]
	v_add_co_u32_e32 v4, vcc, v32, v4
	v_addc_co_u32_e32 v5, vcc, v33, v5, vcc
	v_mov_b32_e32 v7, v20
	global_store_dwordx4 v[4:5], v[16:19], off
	v_lshlrev_b64 v[4:5], 4, v[6:7]
	v_mov_b32_e32 v6, v22
	v_mad_u64_u32 v[6:7], s[0:1], s3, v23, v[6:7]
	v_add_co_u32_e32 v4, vcc, v32, v4
	v_addc_co_u32_e32 v5, vcc, v33, v5, vcc
	global_store_dwordx4 v[4:5], v[8:11], off
	v_mov_b32_e32 v22, v6
	v_add_u32_e32 v8, 0x5b, v102
	v_mad_u64_u32 v[6:7], s[0:1], s2, v8, 0
	v_add_f64 v[121:122], v[131:132], v[121:122]
	v_fma_f64 v[125:126], v[58:59], s[28:29], v[96:97]
	v_fma_f64 v[44:45], v[60:61], s[4:5], v[72:73]
	v_add_f64 v[56:57], v[56:57], v[82:83]
	v_mad_u64_u32 v[7:8], s[0:1], s3, v8, v[7:8]
	v_add_u32_e32 v10, 0x68, v102
	v_lshlrev_b64 v[4:5], 4, v[21:22]
	v_mad_u64_u32 v[8:9], s[0:1], s2, v10, 0
	v_add_co_u32_e32 v4, vcc, v32, v4
	v_addc_co_u32_e32 v5, vcc, v33, v5, vcc
	v_add_f64 v[121:122], v[125:126], v[121:122]
	v_fma_f64 v[125:126], v[48:49], s[26:27], v[94:95]
	v_add_f64 v[44:45], v[44:45], v[56:57]
	global_store_dwordx4 v[4:5], v[0:3], off
	v_fma_f64 v[127:128], v[46:47], s[10:11], v[135:136]
	v_mov_b32_e32 v2, v9
	v_mad_u64_u32 v[2:3], s[0:1], s3, v10, v[2:3]
	v_add_u32_e32 v4, 0x75, v102
	v_lshlrev_b64 v[0:1], 4, v[6:7]
	v_mov_b32_e32 v9, v2
	v_mad_u64_u32 v[2:3], s[0:1], s2, v4, 0
	v_add_f64 v[121:122], v[125:126], v[121:122]
	v_fma_f64 v[123:124], v[40:41], s[24:25], v[88:89]
	v_fma_f64 v[34:35], v[46:47], s[16:17], v[70:71]
	v_add_f64 v[38:39], v[38:39], v[44:45]
	v_add_co_u32_e32 v0, vcc, v32, v0
	v_addc_co_u32_e32 v1, vcc, v33, v1, vcc
	v_mad_u64_u32 v[3:4], s[0:1], s3, v4, v[3:4]
	v_add_u32_e32 v6, 0x82, v102
	global_store_dwordx4 v[0:1], v[12:15], off
	v_lshlrev_b64 v[0:1], 4, v[8:9]
	v_mad_u64_u32 v[4:5], s[0:1], s2, v6, 0
	v_add_f64 v[84:85], v[127:128], v[115:116]
	v_add_co_u32_e32 v0, vcc, v32, v0
	v_addc_co_u32_e32 v1, vcc, v33, v1, vcc
	global_store_dwordx4 v[0:1], v[103:106], off
	v_lshlrev_b64 v[0:1], 4, v[2:3]
	v_mov_b32_e32 v2, v5
	v_mad_u64_u32 v[2:3], s[0:1], s3, v6, v[2:3]
	v_add_f64 v[90:91], v[123:124], v[121:122]
	v_add_f64 v[88:89], v[34:35], v[38:39]
	v_add_co_u32_e32 v0, vcc, v32, v0
	v_addc_co_u32_e32 v1, vcc, v33, v1, vcc
	v_mov_b32_e32 v5, v2
	global_store_dwordx4 v[0:1], v[84:87], off
	v_lshlrev_b64 v[0:1], 4, v[4:5]
	v_add_co_u32_e32 v0, vcc, v32, v0
	v_addc_co_u32_e32 v1, vcc, v33, v1, vcc
	global_store_dwordx4 v[0:1], v[88:91], off
.LBB0_16:
	s_endpgm
	.section	.rodata,"a",@progbits
	.p2align	6, 0x0
	.amdhsa_kernel fft_rtc_fwd_len143_factors_13_11_wgs_182_tpt_13_dp_ip_CI_sbrr_dirReg
		.amdhsa_group_segment_fixed_size 0
		.amdhsa_private_segment_fixed_size 0
		.amdhsa_kernarg_size 88
		.amdhsa_user_sgpr_count 6
		.amdhsa_user_sgpr_private_segment_buffer 1
		.amdhsa_user_sgpr_dispatch_ptr 0
		.amdhsa_user_sgpr_queue_ptr 0
		.amdhsa_user_sgpr_kernarg_segment_ptr 1
		.amdhsa_user_sgpr_dispatch_id 0
		.amdhsa_user_sgpr_flat_scratch_init 0
		.amdhsa_user_sgpr_private_segment_size 0
		.amdhsa_uses_dynamic_stack 0
		.amdhsa_system_sgpr_private_segment_wavefront_offset 0
		.amdhsa_system_sgpr_workgroup_id_x 1
		.amdhsa_system_sgpr_workgroup_id_y 0
		.amdhsa_system_sgpr_workgroup_id_z 0
		.amdhsa_system_sgpr_workgroup_info 0
		.amdhsa_system_vgpr_workitem_id 0
		.amdhsa_next_free_vgpr 141
		.amdhsa_next_free_sgpr 42
		.amdhsa_reserve_vcc 1
		.amdhsa_reserve_flat_scratch 0
		.amdhsa_float_round_mode_32 0
		.amdhsa_float_round_mode_16_64 0
		.amdhsa_float_denorm_mode_32 3
		.amdhsa_float_denorm_mode_16_64 3
		.amdhsa_dx10_clamp 1
		.amdhsa_ieee_mode 1
		.amdhsa_fp16_overflow 0
		.amdhsa_exception_fp_ieee_invalid_op 0
		.amdhsa_exception_fp_denorm_src 0
		.amdhsa_exception_fp_ieee_div_zero 0
		.amdhsa_exception_fp_ieee_overflow 0
		.amdhsa_exception_fp_ieee_underflow 0
		.amdhsa_exception_fp_ieee_inexact 0
		.amdhsa_exception_int_div_zero 0
	.end_amdhsa_kernel
	.text
.Lfunc_end0:
	.size	fft_rtc_fwd_len143_factors_13_11_wgs_182_tpt_13_dp_ip_CI_sbrr_dirReg, .Lfunc_end0-fft_rtc_fwd_len143_factors_13_11_wgs_182_tpt_13_dp_ip_CI_sbrr_dirReg
                                        ; -- End function
	.section	.AMDGPU.csdata,"",@progbits
; Kernel info:
; codeLenInByte = 9384
; NumSgprs: 46
; NumVgprs: 141
; ScratchSize: 0
; MemoryBound: 1
; FloatMode: 240
; IeeeMode: 1
; LDSByteSize: 0 bytes/workgroup (compile time only)
; SGPRBlocks: 5
; VGPRBlocks: 35
; NumSGPRsForWavesPerEU: 46
; NumVGPRsForWavesPerEU: 141
; Occupancy: 1
; WaveLimiterHint : 1
; COMPUTE_PGM_RSRC2:SCRATCH_EN: 0
; COMPUTE_PGM_RSRC2:USER_SGPR: 6
; COMPUTE_PGM_RSRC2:TRAP_HANDLER: 0
; COMPUTE_PGM_RSRC2:TGID_X_EN: 1
; COMPUTE_PGM_RSRC2:TGID_Y_EN: 0
; COMPUTE_PGM_RSRC2:TGID_Z_EN: 0
; COMPUTE_PGM_RSRC2:TIDIG_COMP_CNT: 0
	.type	__hip_cuid_f487fc802adcc170,@object ; @__hip_cuid_f487fc802adcc170
	.section	.bss,"aw",@nobits
	.globl	__hip_cuid_f487fc802adcc170
__hip_cuid_f487fc802adcc170:
	.byte	0                               ; 0x0
	.size	__hip_cuid_f487fc802adcc170, 1

	.ident	"AMD clang version 19.0.0git (https://github.com/RadeonOpenCompute/llvm-project roc-6.4.0 25133 c7fe45cf4b819c5991fe208aaa96edf142730f1d)"
	.section	".note.GNU-stack","",@progbits
	.addrsig
	.addrsig_sym __hip_cuid_f487fc802adcc170
	.amdgpu_metadata
---
amdhsa.kernels:
  - .args:
      - .actual_access:  read_only
        .address_space:  global
        .offset:         0
        .size:           8
        .value_kind:     global_buffer
      - .offset:         8
        .size:           8
        .value_kind:     by_value
      - .actual_access:  read_only
        .address_space:  global
        .offset:         16
        .size:           8
        .value_kind:     global_buffer
      - .actual_access:  read_only
        .address_space:  global
        .offset:         24
        .size:           8
        .value_kind:     global_buffer
      - .offset:         32
        .size:           8
        .value_kind:     by_value
      - .actual_access:  read_only
        .address_space:  global
        .offset:         40
        .size:           8
        .value_kind:     global_buffer
      - .actual_access:  read_only
        .address_space:  global
        .offset:         48
        .size:           8
        .value_kind:     global_buffer
      - .offset:         56
        .size:           4
        .value_kind:     by_value
      - .actual_access:  read_only
        .address_space:  global
        .offset:         64
        .size:           8
        .value_kind:     global_buffer
      - .actual_access:  read_only
        .address_space:  global
        .offset:         72
        .size:           8
        .value_kind:     global_buffer
      - .address_space:  global
        .offset:         80
        .size:           8
        .value_kind:     global_buffer
    .group_segment_fixed_size: 0
    .kernarg_segment_align: 8
    .kernarg_segment_size: 88
    .language:       OpenCL C
    .language_version:
      - 2
      - 0
    .max_flat_workgroup_size: 182
    .name:           fft_rtc_fwd_len143_factors_13_11_wgs_182_tpt_13_dp_ip_CI_sbrr_dirReg
    .private_segment_fixed_size: 0
    .sgpr_count:     46
    .sgpr_spill_count: 0
    .symbol:         fft_rtc_fwd_len143_factors_13_11_wgs_182_tpt_13_dp_ip_CI_sbrr_dirReg.kd
    .uniform_work_group_size: 1
    .uses_dynamic_stack: false
    .vgpr_count:     141
    .vgpr_spill_count: 0
    .wavefront_size: 64
amdhsa.target:   amdgcn-amd-amdhsa--gfx906
amdhsa.version:
  - 1
  - 2
...

	.end_amdgpu_metadata
